;; amdgpu-corpus repo=ROCm/rocFFT kind=compiled arch=gfx1030 opt=O3
	.text
	.amdgcn_target "amdgcn-amd-amdhsa--gfx1030"
	.amdhsa_code_object_version 6
	.protected	fft_rtc_back_len160_factors_4_10_4_wgs_192_tpt_16_sp_ip_CI_sbcc_twdbase5_3step ; -- Begin function fft_rtc_back_len160_factors_4_10_4_wgs_192_tpt_16_sp_ip_CI_sbcc_twdbase5_3step
	.globl	fft_rtc_back_len160_factors_4_10_4_wgs_192_tpt_16_sp_ip_CI_sbcc_twdbase5_3step
	.p2align	8
	.type	fft_rtc_back_len160_factors_4_10_4_wgs_192_tpt_16_sp_ip_CI_sbcc_twdbase5_3step,@function
fft_rtc_back_len160_factors_4_10_4_wgs_192_tpt_16_sp_ip_CI_sbcc_twdbase5_3step: ; @fft_rtc_back_len160_factors_4_10_4_wgs_192_tpt_16_sp_ip_CI_sbcc_twdbase5_3step
; %bb.0:
	s_load_dwordx8 s[8:15], s[4:5], 0x8
	s_mov_b32 s0, exec_lo
	v_cmpx_gt_u32_e32 0x60, v0
	s_cbranch_execz .LBB0_2
; %bb.1:
	v_lshlrev_b32_e32 v3, 3, v0
	s_waitcnt lgkmcnt(0)
	global_load_dwordx2 v[1:2], v3, s[8:9]
	v_add_nc_u32_e32 v3, 0, v3
	s_waitcnt vmcnt(0)
	ds_write_b64 v3, v[1:2] offset:15360
.LBB0_2:
	s_or_b32 exec_lo, exec_lo, s0
	s_waitcnt lgkmcnt(0)
	s_load_dwordx2 s[0:1], s[12:13], 0x8
	s_waitcnt lgkmcnt(0)
	s_add_u32 s2, s0, -1
	s_addc_u32 s3, s1, -1
	s_add_u32 s7, 0, 0x55540000
	s_addc_u32 s8, 0, 0x55
	s_mul_hi_u32 s16, s7, -12
	s_add_i32 s8, s8, 0x15555500
	s_sub_i32 s16, s16, s7
	s_mul_i32 s18, s8, -12
	s_mul_i32 s9, s7, -12
	s_add_i32 s16, s16, s18
	s_mul_hi_u32 s17, s7, s9
	s_mul_i32 s20, s7, s16
	s_mul_hi_u32 s18, s7, s16
	s_mul_hi_u32 s19, s8, s9
	s_mul_i32 s9, s8, s9
	s_add_u32 s17, s17, s20
	s_addc_u32 s18, 0, s18
	s_mul_hi_u32 s21, s8, s16
	s_add_u32 s9, s17, s9
	s_mul_i32 s16, s8, s16
	s_addc_u32 s9, s18, s19
	s_addc_u32 s17, s21, 0
	s_add_u32 s9, s9, s16
	v_add_co_u32 v1, s7, s7, s9
	s_addc_u32 s9, 0, s17
	s_cmp_lg_u32 s7, 0
	s_addc_u32 s7, s8, s9
	v_readfirstlane_b32 s8, v1
	s_mul_i32 s16, s2, s7
	s_mul_hi_u32 s9, s2, s7
	s_mul_hi_u32 s17, s3, s7
	s_mul_i32 s7, s3, s7
	s_mul_hi_u32 s18, s2, s8
	s_mul_hi_u32 s19, s3, s8
	s_mul_i32 s8, s3, s8
	s_add_u32 s16, s18, s16
	s_addc_u32 s9, 0, s9
	s_add_u32 s8, s16, s8
	s_addc_u32 s8, s9, s19
	s_addc_u32 s9, s17, 0
	s_add_u32 s8, s8, s7
	s_addc_u32 s9, 0, s9
	s_mul_i32 s16, s8, 12
	s_add_u32 s7, s8, 1
	v_sub_co_u32 v1, s2, s2, s16
	s_mul_hi_u32 s16, s8, 12
	s_addc_u32 s17, s9, 0
	s_mul_i32 s18, s9, 12
	v_sub_co_u32 v2, s19, v1, 12
	s_add_u32 s20, s8, 2
	s_addc_u32 s21, s9, 0
	s_add_i32 s16, s16, s18
	s_cmp_lg_u32 s2, 0
	v_readfirstlane_b32 s2, v2
	s_subb_u32 s3, s3, s16
	s_cmp_lg_u32 s19, 0
	s_subb_u32 s16, s3, 0
	s_cmp_gt_u32 s2, 11
	s_cselect_b32 s2, -1, 0
	s_cmp_eq_u32 s16, 0
	v_readfirstlane_b32 s16, v1
	s_cselect_b32 s2, s2, -1
	s_cmp_lg_u32 s2, 0
	s_cselect_b32 s2, s20, s7
	s_cselect_b32 s17, s21, s17
	s_cmp_gt_u32 s16, 11
	s_mov_b64 s[20:21], 0
	s_cselect_b32 s7, -1, 0
	s_cmp_eq_u32 s3, 0
	s_cselect_b32 s3, s7, -1
	s_mov_b32 s7, 0
	s_cmp_lg_u32 s3, 0
	s_cselect_b32 s2, s2, s8
	s_cselect_b32 s3, s17, s9
	s_add_u32 s8, s2, 1
	s_addc_u32 s9, s3, 0
	v_cmp_lt_u64_e64 s2, s[6:7], s[8:9]
	s_and_b32 vcc_lo, exec_lo, s2
	s_cbranch_vccnz .LBB0_4
; %bb.3:
	v_cvt_f32_u32_e32 v1, s8
	s_sub_i32 s3, 0, s8
	s_mov_b32 s21, s7
	v_rcp_iflag_f32_e32 v1, v1
	v_mul_f32_e32 v1, 0x4f7ffffe, v1
	v_cvt_u32_f32_e32 v1, v1
	v_readfirstlane_b32 s2, v1
	s_mul_i32 s3, s3, s2
	s_mul_hi_u32 s3, s2, s3
	s_add_i32 s2, s2, s3
	s_mul_hi_u32 s2, s6, s2
	s_mul_i32 s3, s2, s8
	s_add_i32 s16, s2, 1
	s_sub_i32 s3, s6, s3
	s_sub_i32 s17, s3, s8
	s_cmp_ge_u32 s3, s8
	s_cselect_b32 s2, s16, s2
	s_cselect_b32 s3, s17, s3
	s_add_i32 s16, s2, 1
	s_cmp_ge_u32 s3, s8
	s_cselect_b32 s20, s16, s2
.LBB0_4:
	s_load_dwordx4 s[16:19], s[14:15], 0x0
	s_clause 0x1
	s_load_dwordx2 s[2:3], s[4:5], 0x58
	s_load_dwordx2 s[4:5], s[4:5], 0x0
	s_mul_i32 s22, s20, s9
	s_mul_hi_u32 s23, s20, s8
	s_mul_i32 s24, s20, s8
	s_add_i32 s23, s23, s22
	s_sub_u32 s34, s6, s24
	s_subb_u32 s22, 0, s23
	s_mul_hi_u32 s33, s34, 12
	s_mul_i32 s22, s22, 12
	v_cmp_lt_u64_e64 s25, s[10:11], 3
	s_mul_i32 s34, s34, 12
	s_add_i32 s33, s33, s22
	s_and_b32 vcc_lo, exec_lo, s25
	s_waitcnt lgkmcnt(0)
	s_mul_i32 s22, s18, s33
	s_mul_hi_u32 s23, s18, s34
	s_mul_i32 s24, s19, s34
	s_add_i32 s22, s23, s22
	s_mul_i32 s35, s18, s34
	s_add_i32 s36, s22, s24
	s_cbranch_vccnz .LBB0_14
; %bb.5:
	s_add_u32 s22, s14, 16
	s_addc_u32 s23, s15, 0
	s_add_u32 s12, s12, 16
	s_addc_u32 s13, s13, 0
	s_mov_b64 s[24:25], 2
	s_mov_b32 s26, 0
.LBB0_6:                                ; =>This Inner Loop Header: Depth=1
	s_load_dwordx2 s[28:29], s[12:13], 0x0
	s_waitcnt lgkmcnt(0)
	s_or_b64 s[30:31], s[20:21], s[28:29]
	s_mov_b32 s27, s31
                                        ; implicit-def: $sgpr30_sgpr31
	s_cmp_lg_u64 s[26:27], 0
	s_mov_b32 s27, -1
	s_cbranch_scc0 .LBB0_8
; %bb.7:                                ;   in Loop: Header=BB0_6 Depth=1
	v_cvt_f32_u32_e32 v1, s28
	v_cvt_f32_u32_e32 v2, s29
	s_sub_u32 s31, 0, s28
	s_subb_u32 s37, 0, s29
	v_fmac_f32_e32 v1, 0x4f800000, v2
	v_rcp_f32_e32 v1, v1
	v_mul_f32_e32 v1, 0x5f7ffffc, v1
	v_mul_f32_e32 v2, 0x2f800000, v1
	v_trunc_f32_e32 v2, v2
	v_fmac_f32_e32 v1, 0xcf800000, v2
	v_cvt_u32_f32_e32 v2, v2
	v_cvt_u32_f32_e32 v1, v1
	v_readfirstlane_b32 s27, v2
	v_readfirstlane_b32 s30, v1
	s_mul_i32 s38, s31, s27
	s_mul_hi_u32 s40, s31, s30
	s_mul_i32 s39, s37, s30
	s_add_i32 s38, s40, s38
	s_mul_i32 s41, s31, s30
	s_add_i32 s38, s38, s39
	s_mul_hi_u32 s40, s30, s41
	s_mul_hi_u32 s42, s27, s41
	s_mul_i32 s39, s27, s41
	s_mul_hi_u32 s41, s30, s38
	s_mul_i32 s30, s30, s38
	s_mul_hi_u32 s43, s27, s38
	s_add_u32 s30, s40, s30
	s_addc_u32 s40, 0, s41
	s_add_u32 s30, s30, s39
	s_mul_i32 s38, s27, s38
	s_addc_u32 s30, s40, s42
	s_addc_u32 s39, s43, 0
	s_add_u32 s30, s30, s38
	s_addc_u32 s38, 0, s39
	v_add_co_u32 v1, s30, v1, s30
	s_cmp_lg_u32 s30, 0
	s_addc_u32 s27, s27, s38
	v_readfirstlane_b32 s30, v1
	s_mul_i32 s38, s31, s27
	s_mul_hi_u32 s39, s31, s30
	s_mul_i32 s37, s37, s30
	s_add_i32 s38, s39, s38
	s_mul_i32 s31, s31, s30
	s_add_i32 s38, s38, s37
	s_mul_hi_u32 s39, s27, s31
	s_mul_i32 s40, s27, s31
	s_mul_hi_u32 s31, s30, s31
	s_mul_hi_u32 s41, s30, s38
	s_mul_i32 s30, s30, s38
	s_mul_hi_u32 s37, s27, s38
	s_add_u32 s30, s31, s30
	s_addc_u32 s31, 0, s41
	s_add_u32 s30, s30, s40
	s_mul_i32 s38, s27, s38
	s_addc_u32 s30, s31, s39
	s_addc_u32 s31, s37, 0
	s_add_u32 s30, s30, s38
	s_addc_u32 s31, 0, s31
	v_add_co_u32 v1, s30, v1, s30
	s_cmp_lg_u32 s30, 0
	s_addc_u32 s27, s27, s31
	v_readfirstlane_b32 s30, v1
	s_mul_i32 s37, s20, s27
	s_mul_hi_u32 s31, s20, s27
	s_mul_hi_u32 s38, s21, s27
	s_mul_i32 s27, s21, s27
	s_mul_hi_u32 s39, s20, s30
	s_mul_hi_u32 s40, s21, s30
	s_mul_i32 s30, s21, s30
	s_add_u32 s37, s39, s37
	s_addc_u32 s31, 0, s31
	s_add_u32 s30, s37, s30
	s_addc_u32 s30, s31, s40
	s_addc_u32 s31, s38, 0
	s_add_u32 s30, s30, s27
	s_addc_u32 s31, 0, s31
	s_mul_hi_u32 s27, s28, s30
	s_mul_i32 s38, s28, s31
	s_mul_i32 s39, s28, s30
	s_add_i32 s27, s27, s38
	v_sub_co_u32 v1, s38, s20, s39
	s_mul_i32 s37, s29, s30
	s_add_i32 s27, s27, s37
	v_sub_co_u32 v2, s39, v1, s28
	s_sub_i32 s37, s21, s27
	s_cmp_lg_u32 s38, 0
	s_subb_u32 s37, s37, s29
	s_cmp_lg_u32 s39, 0
	v_readfirstlane_b32 s39, v2
	s_subb_u32 s37, s37, 0
	s_cmp_ge_u32 s37, s29
	s_cselect_b32 s40, -1, 0
	s_cmp_ge_u32 s39, s28
	s_cselect_b32 s39, -1, 0
	s_cmp_eq_u32 s37, s29
	s_cselect_b32 s37, s39, s40
	s_add_u32 s39, s30, 1
	s_addc_u32 s40, s31, 0
	s_add_u32 s41, s30, 2
	s_addc_u32 s42, s31, 0
	s_cmp_lg_u32 s37, 0
	s_cselect_b32 s37, s41, s39
	s_cselect_b32 s39, s42, s40
	s_cmp_lg_u32 s38, 0
	v_readfirstlane_b32 s38, v1
	s_subb_u32 s27, s21, s27
	s_cmp_ge_u32 s27, s29
	s_cselect_b32 s40, -1, 0
	s_cmp_ge_u32 s38, s28
	s_cselect_b32 s38, -1, 0
	s_cmp_eq_u32 s27, s29
	s_cselect_b32 s27, s38, s40
	s_cmp_lg_u32 s27, 0
	s_mov_b32 s27, 0
	s_cselect_b32 s31, s39, s31
	s_cselect_b32 s30, s37, s30
.LBB0_8:                                ;   in Loop: Header=BB0_6 Depth=1
	s_andn2_b32 vcc_lo, exec_lo, s27
	s_cbranch_vccnz .LBB0_10
; %bb.9:                                ;   in Loop: Header=BB0_6 Depth=1
	v_cvt_f32_u32_e32 v1, s28
	s_sub_i32 s30, 0, s28
	v_rcp_iflag_f32_e32 v1, v1
	v_mul_f32_e32 v1, 0x4f7ffffe, v1
	v_cvt_u32_f32_e32 v1, v1
	v_readfirstlane_b32 s27, v1
	s_mul_i32 s30, s30, s27
	s_mul_hi_u32 s30, s27, s30
	s_add_i32 s27, s27, s30
	s_mul_hi_u32 s27, s20, s27
	s_mul_i32 s30, s27, s28
	s_add_i32 s31, s27, 1
	s_sub_i32 s30, s20, s30
	s_sub_i32 s37, s30, s28
	s_cmp_ge_u32 s30, s28
	s_cselect_b32 s27, s31, s27
	s_cselect_b32 s30, s37, s30
	s_add_i32 s31, s27, 1
	s_cmp_ge_u32 s30, s28
	s_cselect_b32 s30, s31, s27
	s_mov_b32 s31, s26
.LBB0_10:                               ;   in Loop: Header=BB0_6 Depth=1
	s_load_dwordx2 s[38:39], s[22:23], 0x0
	s_mul_i32 s9, s28, s9
	s_mul_hi_u32 s27, s28, s8
	s_mul_i32 s37, s29, s8
	s_mul_i32 s29, s30, s29
	s_mul_hi_u32 s40, s30, s28
	s_mul_i32 s41, s31, s28
	s_add_i32 s9, s27, s9
	s_add_i32 s27, s40, s29
	s_mul_i32 s42, s30, s28
	s_add_i32 s9, s9, s37
	s_add_i32 s27, s27, s41
	s_sub_u32 s20, s20, s42
	s_subb_u32 s21, s21, s27
	s_mul_i32 s8, s28, s8
	s_waitcnt lgkmcnt(0)
	s_mul_i32 s21, s38, s21
	s_mul_hi_u32 s27, s38, s20
	s_add_i32 s21, s27, s21
	s_mul_i32 s27, s39, s20
	s_mul_i32 s20, s38, s20
	s_add_i32 s21, s21, s27
	s_add_u32 s35, s20, s35
	s_addc_u32 s36, s21, s36
	s_add_u32 s24, s24, 1
	s_addc_u32 s25, s25, 0
	s_add_u32 s22, s22, 8
	v_cmp_ge_u64_e64 s20, s[24:25], s[10:11]
	s_addc_u32 s23, s23, 0
	s_add_u32 s12, s12, 8
	s_addc_u32 s13, s13, 0
	s_and_b32 vcc_lo, exec_lo, s20
	s_cbranch_vccnz .LBB0_12
; %bb.11:                               ;   in Loop: Header=BB0_6 Depth=1
	s_mov_b64 s[20:21], s[30:31]
	s_branch .LBB0_6
.LBB0_12:
	v_cmp_lt_u64_e64 s7, s[6:7], s[8:9]
	s_mov_b64 s[20:21], 0
	s_and_b32 vcc_lo, exec_lo, s7
	s_cbranch_vccnz .LBB0_14
; %bb.13:
	v_cvt_f32_u32_e32 v1, s8
	s_sub_i32 s9, 0, s8
	v_rcp_iflag_f32_e32 v1, v1
	v_mul_f32_e32 v1, 0x4f7ffffe, v1
	v_cvt_u32_f32_e32 v1, v1
	v_readfirstlane_b32 s7, v1
	s_mul_i32 s9, s9, s7
	s_mul_hi_u32 s9, s7, s9
	s_add_i32 s7, s7, s9
	s_mul_hi_u32 s7, s6, s7
	s_mul_i32 s9, s7, s8
	s_sub_i32 s6, s6, s9
	s_add_i32 s9, s7, 1
	s_sub_i32 s12, s6, s8
	s_cmp_ge_u32 s6, s8
	s_cselect_b32 s7, s9, s7
	s_cselect_b32 s6, s12, s6
	s_add_i32 s9, s7, 1
	s_cmp_ge_u32 s6, s8
	s_cselect_b32 s20, s9, s7
.LBB0_14:
	s_lshl_b64 s[6:7], s[10:11], 3
	v_mul_hi_u32 v68, 0x15555556, v0
	s_add_u32 s6, s14, s6
	s_addc_u32 s7, s15, s7
	s_load_dwordx2 s[6:7], s[6:7], 0x0
	v_mul_u32_u24_e32 v1, 12, v68
	v_lshlrev_b32_e32 v72, 3, v68
	v_add_nc_u32_e32 v70, 16, v68
	v_or_b32_e32 v69, 32, v68
	v_add_nc_u32_e32 v67, 48, v68
	v_sub_nc_u32_e32 v71, v0, v1
	v_or_b32_e32 v66, 64, v68
	v_add_nc_u32_e32 v65, 0x50, v68
	v_or_b32_e32 v64, 0x60, v68
	v_add_nc_u32_e32 v63, 0x70, v68
	v_add_co_u32 v1, s8, s34, v71
	v_add_co_ci_u32_e64 v2, null, s33, 0, s8
	v_mul_lo_u32 v73, 0x500, v71
	v_or_b32_e32 v62, 0x80, v68
	s_waitcnt lgkmcnt(0)
	s_mul_i32 s7, s7, s20
	s_mul_hi_u32 s8, s6, s20
	s_mul_i32 s6, s6, s20
	s_add_i32 s8, s8, s7
	s_add_u32 s6, s6, s35
	s_addc_u32 s7, s8, s36
	s_add_u32 s8, s34, 12
	s_addc_u32 s9, s33, 0
	v_cmp_gt_u64_e32 vcc_lo, s[0:1], v[1:2]
	v_cmp_le_u64_e64 s0, s[8:9], s[0:1]
	v_add_nc_u32_e32 v61, 0x90, v68
	s_or_b32 s1, s0, vcc_lo
	s_and_saveexec_b32 s0, s1
	s_cbranch_execz .LBB0_16
; %bb.15:
	v_mad_u64_u32 v[1:2], null, s18, v71, 0
	v_mad_u64_u32 v[3:4], null, s16, v68, 0
	;; [unrolled: 1-line block ×4, first 2 shown]
	s_lshl_b64 s[8:9], s[6:7], 3
	v_mad_u64_u32 v[15:16], null, s16, v64, 0
	v_mad_u64_u32 v[9:10], null, s19, v71, v[2:3]
	v_mov_b32_e32 v2, v6
	v_mad_u64_u32 v[10:11], null, s17, v68, v[4:5]
	v_mad_u64_u32 v[11:12], null, s16, v67, 0
	;; [unrolled: 1-line block ×3, first 2 shown]
	v_mov_b32_e32 v2, v9
	s_add_u32 s8, s2, s8
	v_mov_b32_e32 v4, v10
	s_addc_u32 s9, s3, s9
	v_mov_b32_e32 v9, v12
	v_lshlrev_b64 v[1:2], 3, v[1:2]
	v_mov_b32_e32 v6, v13
	v_mad_u64_u32 v[13:14], null, s16, v66, 0
	v_lshlrev_b64 v[3:4], 3, v[3:4]
	v_mad_u64_u32 v[20:21], null, s16, v62, 0
	v_add_co_u32 v25, vcc_lo, s8, v1
	v_add_co_ci_u32_e32 v26, vcc_lo, s9, v2, vcc_lo
	v_mad_u64_u32 v[1:2], null, s17, v69, v[8:9]
	v_mad_u64_u32 v[9:10], null, s17, v67, v[9:10]
	v_lshlrev_b64 v[5:6], 3, v[5:6]
	v_add_co_u32 v2, vcc_lo, v25, v3
	v_add_co_ci_u32_e32 v3, vcc_lo, v26, v4, vcc_lo
	v_mov_b32_e32 v8, v1
	v_mov_b32_e32 v12, v9
	;; [unrolled: 1-line block ×3, first 2 shown]
	v_add_co_u32 v4, vcc_lo, v25, v5
	v_add_co_ci_u32_e32 v5, vcc_lo, v26, v6, vcc_lo
	v_lshlrev_b64 v[6:7], 3, v[7:8]
	v_lshlrev_b64 v[8:9], 3, v[11:12]
	v_mad_u64_u32 v[10:11], null, s17, v66, v[1:2]
	v_mad_u64_u32 v[11:12], null, s16, v65, 0
	v_add_co_u32 v6, vcc_lo, v25, v6
	v_add_co_ci_u32_e32 v7, vcc_lo, v26, v7, vcc_lo
	v_add_co_u32 v8, vcc_lo, v25, v8
	v_mov_b32_e32 v1, v12
	v_add_co_ci_u32_e32 v9, vcc_lo, v26, v9, vcc_lo
	v_mov_b32_e32 v14, v10
	v_mad_u64_u32 v[22:23], null, s16, v61, 0
	v_mad_u64_u32 v[17:18], null, s17, v65, v[1:2]
	v_mad_u64_u32 v[18:19], null, s16, v63, 0
	s_clause 0x3
	global_load_dwordx2 v[1:2], v[2:3], off
	global_load_dwordx2 v[3:4], v[4:5], off
	;; [unrolled: 1-line block ×4, first 2 shown]
	v_mov_b32_e32 v9, v16
	v_lshlrev_b64 v[13:14], 3, v[13:14]
	v_mov_b32_e32 v12, v17
	v_mov_b32_e32 v10, v19
	v_add_co_u32 v13, vcc_lo, v25, v13
	v_add_co_ci_u32_e32 v14, vcc_lo, v26, v14, vcc_lo
	v_mad_u64_u32 v[16:17], null, s17, v64, v[9:10]
	v_mad_u64_u32 v[9:10], null, s17, v63, v[10:11]
	v_lshlrev_b64 v[11:12], 3, v[11:12]
	v_mov_b32_e32 v10, v21
	v_lshlrev_b64 v[15:16], 3, v[15:16]
	v_mov_b32_e32 v19, v9
	v_mad_u64_u32 v[9:10], null, s17, v62, v[10:11]
	v_mov_b32_e32 v10, v23
	v_add_co_u32 v11, vcc_lo, v25, v11
	v_add_co_ci_u32_e32 v12, vcc_lo, v26, v12, vcc_lo
	v_lshlrev_b64 v[17:18], 3, v[18:19]
	v_mad_u64_u32 v[23:24], null, s17, v61, v[10:11]
	v_mov_b32_e32 v21, v9
	v_add_co_u32 v9, vcc_lo, v25, v15
	v_add_co_ci_u32_e32 v10, vcc_lo, v26, v16, vcc_lo
	v_lshlrev_b64 v[15:16], 3, v[20:21]
	v_add_co_u32 v17, vcc_lo, v25, v17
	v_lshlrev_b64 v[19:20], 3, v[22:23]
	v_add_co_ci_u32_e32 v18, vcc_lo, v26, v18, vcc_lo
	v_add_co_u32 v15, vcc_lo, v25, v15
	v_add_co_ci_u32_e32 v16, vcc_lo, v26, v16, vcc_lo
	v_add_co_u32 v19, vcc_lo, v25, v19
	v_add_co_ci_u32_e32 v20, vcc_lo, v26, v20, vcc_lo
	s_clause 0x5
	global_load_dwordx2 v[13:14], v[13:14], off
	global_load_dwordx2 v[11:12], v[11:12], off
	;; [unrolled: 1-line block ×6, first 2 shown]
	v_add3_u32 v21, 0, v73, v72
	s_waitcnt vmcnt(8)
	ds_write2_b64 v21, v[1:2], v[3:4] offset1:16
	s_waitcnt vmcnt(6)
	ds_write2_b64 v21, v[5:6], v[7:8] offset0:32 offset1:48
	s_waitcnt vmcnt(4)
	ds_write2_b64 v21, v[13:14], v[11:12] offset0:64 offset1:80
	;; [unrolled: 2-line block ×4, first 2 shown]
.LBB0_16:
	s_or_b32 exec_lo, exec_lo, s0
	s_add_u32 s0, 0, 0x55540000
	s_addc_u32 s8, 0, 0x55
	s_mul_hi_u32 s10, s0, -12
	s_add_i32 s8, s8, 0x15555500
	s_sub_i32 s10, s10, s0
	s_mul_i32 s11, s8, -12
	s_mul_i32 s9, s0, -12
	s_add_i32 s10, s10, s11
	s_mul_hi_u32 s12, s8, s9
	s_mul_i32 s11, s8, s9
	s_mul_i32 s13, s0, s10
	s_mul_hi_u32 s9, s0, s9
	s_mul_hi_u32 s14, s0, s10
	s_add_u32 s9, s9, s13
	s_addc_u32 s13, 0, s14
	s_mul_hi_u32 s14, s8, s10
	s_add_u32 s9, s9, s11
	s_addc_u32 s9, s13, s12
	s_mul_i32 s10, s8, s10
	v_lshrrev_b32_e32 v1, 4, v0
	s_addc_u32 s11, s14, 0
	s_add_u32 s9, s9, s10
	v_and_b32_e32 v40, 15, v0
	v_add_co_u32 v3, s0, s0, s9
	s_addc_u32 s9, 0, s11
	s_cmp_lg_u32 s0, 0
	v_add_co_u32 v37, s0, s34, v1
	v_add_co_ci_u32_e64 v5, null, s33, 0, s0
	s_addc_u32 s0, s8, s9
	v_mul_hi_u32 v6, v37, v3
	v_mad_u64_u32 v[1:2], null, v37, s0, 0
	v_mad_u64_u32 v[3:4], null, v5, v3, 0
	v_lshlrev_b32_e32 v18, 3, v40
	s_waitcnt lgkmcnt(0)
	s_barrier
	buffer_gl0_inv
	v_add_co_u32 v6, vcc_lo, v6, v1
	v_add_co_ci_u32_e32 v7, vcc_lo, 0, v2, vcc_lo
	v_mad_u64_u32 v[1:2], null, v5, s0, 0
	v_add_co_u32 v3, vcc_lo, v6, v3
	v_add_co_ci_u32_e32 v3, vcc_lo, v7, v4, vcc_lo
	v_add_nc_u32_e32 v39, 0, v18
	v_or_b32_e32 v41, 32, v40
	v_add_co_ci_u32_e32 v2, vcc_lo, 0, v2, vcc_lo
	v_add_co_u32 v1, vcc_lo, v3, v1
	v_add_co_ci_u32_e32 v3, vcc_lo, 0, v2, vcc_lo
	v_mad_u64_u32 v[1:2], null, v1, 12, 0
	v_mad_u64_u32 v[2:3], null, v3, 12, v[2:3]
	v_sub_co_u32 v1, vcc_lo, v37, v1
	v_sub_co_ci_u32_e32 v2, vcc_lo, v5, v2, vcc_lo
	v_sub_co_u32 v3, vcc_lo, v1, 12
	v_subrev_co_ci_u32_e32 v4, vcc_lo, 0, v2, vcc_lo
	v_cmp_lt_u32_e32 vcc_lo, 11, v3
	v_cndmask_b32_e64 v5, 0, -1, vcc_lo
	v_cmp_lt_u32_e32 vcc_lo, 11, v1
	v_cndmask_b32_e64 v6, 0, -1, vcc_lo
	v_cmp_eq_u32_e32 vcc_lo, 0, v4
	v_cndmask_b32_e32 v4, -1, v5, vcc_lo
	v_cmp_eq_u32_e32 vcc_lo, 0, v2
	v_add_nc_u32_e32 v5, -12, v3
	v_cndmask_b32_e32 v2, -1, v6, vcc_lo
	v_cmp_ne_u32_e32 vcc_lo, 0, v4
	v_cndmask_b32_e32 v3, v3, v5, vcc_lo
	v_cmp_ne_u32_e32 vcc_lo, 0, v2
	v_cndmask_b32_e32 v1, v1, v3, vcc_lo
	v_cmp_gt_u32_e32 vcc_lo, 8, v40
	v_mul_u32_u24_e32 v38, 0xa0, v1
	v_lshlrev_b32_e32 v5, 3, v38
	v_add_nc_u32_e32 v20, 0, v5
	v_add_nc_u32_e32 v74, v39, v5
	ds_read2_b64 v[1:4], v74 offset0:40 offset1:56
	ds_read2_b64 v[6:9], v74 offset0:120 offset1:136
	;; [unrolled: 1-line block ×4, first 2 shown]
	v_add_nc_u32_e32 v21, v20, v18
	ds_read2_b64 v[22:25], v74 offset0:72 offset1:80
	ds_read_b64 v[18:19], v21
	ds_read_b64 v[26:27], v74 offset:1216
	v_mad_u32_u24 v28, v40, 24, v74
	v_lshl_add_u32 v20, v40, 5, v20
	s_waitcnt lgkmcnt(0)
	s_barrier
	buffer_gl0_inv
	v_sub_f32_e32 v29, v1, v6
	v_sub_f32_e32 v30, v2, v7
	;; [unrolled: 1-line block ×12, first 2 shown]
	v_fma_f32 v1, v1, 2.0, -v29
	v_fma_f32 v2, v2, 2.0, -v30
	;; [unrolled: 1-line block ×8, first 2 shown]
	v_add_f32_e32 v10, v31, v9
	v_sub_f32_e32 v11, v32, v8
	v_fma_f32 v8, v12, 2.0, -v6
	v_fma_f32 v9, v13, 2.0, -v7
	v_add_f32_e32 v12, v24, v30
	v_sub_f32_e32 v13, v25, v29
	v_fma_f32 v29, v22, 2.0, -v26
	v_fma_f32 v30, v23, 2.0, -v27
	v_sub_f32_e32 v18, v35, v1
	v_sub_f32_e32 v19, v36, v2
	;; [unrolled: 1-line block ×4, first 2 shown]
	v_add_f32_e32 v3, v6, v27
	v_sub_f32_e32 v4, v7, v26
	v_sub_f32_e32 v1, v8, v29
	;; [unrolled: 1-line block ×3, first 2 shown]
	v_fma_f32 v22, v24, 2.0, -v12
	v_fma_f32 v23, v25, 2.0, -v13
	;; [unrolled: 1-line block ×8, first 2 shown]
	ds_write2_b64 v28, v[18:19], v[12:13] offset0:2 offset1:3
	ds_write2_b64 v28, v[26:27], v[22:23] offset1:1
	ds_write2_b64 v20, v[24:25], v[16:17] offset0:64 offset1:65
	ds_write2_b64 v20, v[14:15], v[10:11] offset0:66 offset1:67
	s_and_saveexec_b32 s0, vcc_lo
	s_cbranch_execz .LBB0_18
; %bb.17:
	v_lshlrev_b32_e32 v10, 5, v41
	v_fma_f32 v7, v7, 2.0, -v4
	v_fma_f32 v6, v6, 2.0, -v3
	;; [unrolled: 1-line block ×4, first 2 shown]
	v_add3_u32 v10, 0, v10, v5
	ds_write2_b64 v10, v[8:9], v[6:7] offset1:1
	ds_write2_b64 v10, v[1:2], v[3:4] offset0:2 offset1:3
.LBB0_18:
	s_or_b32 exec_lo, exec_lo, s0
	v_and_b32_e32 v0, 3, v0
	s_waitcnt lgkmcnt(0)
	s_barrier
	buffer_gl0_inv
	v_lshrrev_b32_e32 v20, 2, v40
	v_mul_u32_u24_e32 v6, 9, v0
	v_mul_u32_u24_e32 v20, 40, v20
	v_lshlrev_b32_e32 v18, 3, v6
	s_clause 0x4
	global_load_dwordx4 v[6:9], v18, s[4:5]
	global_load_dwordx4 v[10:13], v18, s[4:5] offset:16
	global_load_dwordx4 v[14:17], v18, s[4:5] offset:32
	;; [unrolled: 1-line block ×3, first 2 shown]
	global_load_dwordx2 v[18:19], v18, s[4:5] offset:64
	ds_read2_b64 v[26:29], v74 offset0:16 offset1:32
	ds_read2_b64 v[30:33], v74 offset0:48 offset1:64
	;; [unrolled: 1-line block ×4, first 2 shown]
	ds_read_b64 v[34:35], v21
	ds_read_b64 v[50:51], v74 offset:1152
	v_or_b32_e32 v0, v20, v0
	s_waitcnt vmcnt(0) lgkmcnt(0)
	s_barrier
	buffer_gl0_inv
	v_lshlrev_b32_e32 v0, 3, v0
	v_add3_u32 v0, 0, v0, v5
	v_mul_f32_e32 v5, v7, v27
	v_mul_f32_e32 v7, v7, v26
	v_mul_f32_e32 v20, v9, v29
	v_mul_f32_e32 v9, v9, v28
	v_mul_f32_e32 v36, v11, v31
	v_mul_f32_e32 v11, v11, v30
	v_mul_f32_e32 v52, v13, v33
	v_mul_f32_e32 v13, v13, v32
	v_mul_f32_e32 v53, v15, v43
	v_mul_f32_e32 v15, v15, v42
	v_mul_f32_e32 v54, v45, v17
	v_mul_f32_e32 v17, v44, v17
	v_mul_f32_e32 v55, v47, v23
	v_mul_f32_e32 v23, v46, v23
	v_mul_f32_e32 v56, v49, v25
	v_mul_f32_e32 v25, v48, v25
	v_mul_f32_e32 v57, v51, v19
	v_mul_f32_e32 v19, v50, v19
	v_fmac_f32_e32 v5, v6, v26
	v_fma_f32 v6, v6, v27, -v7
	v_fmac_f32_e32 v20, v8, v28
	v_fma_f32 v7, v8, v29, -v9
	;; [unrolled: 2-line block ×4, first 2 shown]
	v_fma_f32 v10, v14, v43, -v15
	v_fmac_f32_e32 v54, v44, v16
	v_fma_f32 v11, v45, v16, -v17
	v_fma_f32 v12, v47, v22, -v23
	v_fmac_f32_e32 v56, v48, v24
	v_fma_f32 v13, v49, v24, -v25
	v_fmac_f32_e32 v53, v14, v42
	v_fma_f32 v14, v51, v18, -v19
	v_fmac_f32_e32 v55, v46, v22
	v_fmac_f32_e32 v57, v50, v18
	v_add_f32_e32 v15, v34, v20
	v_add_f32_e32 v16, v52, v54
	v_sub_f32_e32 v19, v20, v52
	v_sub_f32_e32 v22, v56, v54
	;; [unrolled: 1-line block ×4, first 2 shown]
	v_add_f32_e32 v51, v10, v12
	v_add_f32_e32 v75, v8, v14
	v_sub_f32_e32 v24, v52, v20
	v_sub_f32_e32 v25, v54, v56
	v_add_f32_e32 v26, v35, v7
	v_add_f32_e32 v27, v9, v11
	v_sub_f32_e32 v28, v52, v54
	v_add_f32_e32 v31, v7, v13
	v_add_f32_e32 v33, v5, v36
	;; [unrolled: 1-line block ×3, first 2 shown]
	v_sub_f32_e32 v45, v36, v53
	v_sub_f32_e32 v46, v57, v55
	v_add_f32_e32 v47, v36, v57
	v_sub_f32_e32 v48, v53, v36
	v_sub_f32_e32 v36, v36, v57
	v_add_f32_e32 v15, v15, v52
	v_fma_f32 v52, -0.5, v16, v34
	v_add_f32_e32 v16, v19, v22
	v_add_f32_e32 v22, v29, v30
	v_fma_f32 v30, -0.5, v51, v6
	v_add_f32_e32 v50, v6, v8
	v_sub_f32_e32 v58, v53, v55
	v_fmac_f32_e32 v6, -0.5, v75
	v_sub_f32_e32 v17, v7, v13
	v_sub_f32_e32 v18, v9, v11
	;; [unrolled: 1-line block ×7, first 2 shown]
	v_add_f32_e32 v19, v24, v25
	v_add_f32_e32 v9, v26, v9
	v_fma_f32 v26, -0.5, v27, v35
	v_fmac_f32_e32 v35, -0.5, v31
	v_add_f32_e32 v24, v33, v53
	v_fma_f32 v25, -0.5, v42, v5
	v_add_f32_e32 v27, v45, v46
	v_fmac_f32_e32 v5, -0.5, v47
	v_fmamk_f32 v46, v36, 0x3f737871, v30
	v_add_f32_e32 v23, v20, v56
	v_sub_f32_e32 v8, v10, v8
	v_sub_f32_e32 v76, v12, v14
	v_fmamk_f32 v47, v58, 0xbf737871, v6
	v_fmac_f32_e32 v6, 0x3f737871, v58
	v_fmac_f32_e32 v30, 0xbf737871, v36
	v_sub_f32_e32 v20, v20, v56
	v_sub_f32_e32 v32, v11, v13
	;; [unrolled: 1-line block ×3, first 2 shown]
	v_add_f32_e32 v31, v59, v60
	v_add_f32_e32 v9, v9, v11
	v_fmamk_f32 v42, v28, 0xbf737871, v35
	v_fmac_f32_e32 v35, 0x3f737871, v28
	v_add_f32_e32 v11, v24, v55
	v_fmamk_f32 v24, v43, 0xbf737871, v25
	v_fmamk_f32 v45, v44, 0x3f737871, v5
	v_fmac_f32_e32 v5, 0xbf737871, v44
	v_fmac_f32_e32 v46, 0x3f167918, v58
	v_fma_f32 v23, -0.5, v23, v34
	v_add_f32_e32 v8, v8, v76
	v_fmac_f32_e32 v25, 0x3f737871, v43
	v_fmac_f32_e32 v47, 0x3f167918, v36
	;; [unrolled: 1-line block ×4, first 2 shown]
	v_add_f32_e32 v7, v7, v32
	v_add_f32_e32 v29, v48, v49
	;; [unrolled: 1-line block ×3, first 2 shown]
	v_fmamk_f32 v32, v17, 0xbf737871, v52
	v_fmamk_f32 v34, v20, 0x3f737871, v26
	v_fmac_f32_e32 v42, 0x3f167918, v20
	v_fmac_f32_e32 v35, 0xbf167918, v20
	;; [unrolled: 1-line block ×6, first 2 shown]
	v_fmamk_f32 v33, v18, 0x3f737871, v23
	v_fmac_f32_e32 v23, 0xbf737871, v18
	v_fmac_f32_e32 v25, 0x3f167918, v44
	;; [unrolled: 1-line block ×7, first 2 shown]
	v_add_f32_e32 v15, v15, v54
	v_add_f32_e32 v10, v10, v12
	v_fmac_f32_e32 v32, 0xbf167918, v18
	v_fmac_f32_e32 v34, 0x3f167918, v28
	;; [unrolled: 1-line block ×7, first 2 shown]
	v_mul_f32_e32 v7, 0xbf167918, v46
	v_mul_f32_e32 v29, 0x3f4f1bbd, v46
	v_fmac_f32_e32 v33, 0xbf167918, v17
	v_fmac_f32_e32 v23, 0x3f167918, v17
	;; [unrolled: 1-line block ×3, first 2 shown]
	v_mul_f32_e32 v8, 0xbf737871, v47
	v_mul_f32_e32 v27, 0xbf737871, v6
	;; [unrolled: 1-line block ×4, first 2 shown]
	v_fmac_f32_e32 v52, 0x3f167918, v18
	v_fmac_f32_e32 v26, 0xbf167918, v28
	v_mul_f32_e32 v28, 0xbf167918, v30
	v_mul_f32_e32 v30, 0xbf4f1bbd, v30
	v_add_f32_e32 v12, v15, v56
	v_add_f32_e32 v13, v9, v13
	;; [unrolled: 1-line block ×4, first 2 shown]
	v_fmac_f32_e32 v32, 0x3e9e377a, v16
	v_fmac_f32_e32 v34, 0x3e9e377a, v22
	v_fmac_f32_e32 v7, 0x3f4f1bbd, v24
	v_fmac_f32_e32 v29, 0x3f167918, v24
	v_fmac_f32_e32 v33, 0x3e9e377a, v19
	v_fmac_f32_e32 v23, 0x3e9e377a, v19
	v_fmac_f32_e32 v8, 0x3e9e377a, v45
	v_fmac_f32_e32 v27, 0xbe9e377a, v5
	v_fmac_f32_e32 v31, 0x3f737871, v45
	v_fmac_f32_e32 v6, 0x3f737871, v5
	v_fmac_f32_e32 v52, 0x3e9e377a, v16
	v_fmac_f32_e32 v26, 0x3e9e377a, v22
	v_fmac_f32_e32 v28, 0xbf4f1bbd, v25
	v_fmac_f32_e32 v30, 0x3f167918, v25
	v_add_f32_e32 v9, v12, v11
	v_add_f32_e32 v10, v13, v14
	v_sub_f32_e32 v11, v12, v11
	v_sub_f32_e32 v12, v13, v14
	v_add_f32_e32 v13, v32, v7
	v_add_f32_e32 v14, v34, v29
	;; [unrolled: 1-line block ×8, first 2 shown]
	v_sub_f32_e32 v22, v32, v7
	v_sub_f32_e32 v24, v33, v8
	;; [unrolled: 1-line block ×8, first 2 shown]
	ds_write2_b64 v0, v[9:10], v[13:14] offset1:4
	ds_write2_b64 v0, v[15:16], v[17:18] offset0:8 offset1:12
	ds_write2_b64 v0, v[19:20], v[11:12] offset0:16 offset1:20
	;; [unrolled: 1-line block ×4, first 2 shown]
	s_waitcnt lgkmcnt(0)
	s_barrier
	buffer_gl0_inv
	ds_read2_b64 v[9:12], v74 offset0:16 offset1:40
	ds_read2_b64 v[17:20], v74 offset0:56 offset1:80
	;; [unrolled: 1-line block ×3, first 2 shown]
	ds_read_b64 v[29:30], v21
	ds_read_b64 v[31:32], v74 offset:1088
	s_and_saveexec_b32 s0, vcc_lo
	s_cbranch_execz .LBB0_20
; %bb.19:
	ds_read2_b64 v[5:8], v74 offset0:32 offset1:72
	ds_read2_b64 v[1:4], v74 offset0:112 offset1:152
.LBB0_20:
	s_or_b32 exec_lo, exec_lo, s0
	v_mul_u32_u24_e32 v0, 3, v40
	v_mul_lo_u32 v42, v40, v37
	v_mul_lo_u32 v45, v37, 40
	v_cmp_gt_u32_e64 s0, 40, v41
	v_lshl_add_u32 v75, v38, 3, v39
	v_lshlrev_b32_e32 v0, 3, v0
	s_add_i32 s8, 0, 0x3c00
	s_clause 0x3
	global_load_dwordx4 v[21:24], v0, s[4:5] offset:288
	global_load_dwordx4 v[25:28], v0, s[4:5] offset:672
	global_load_dwordx2 v[35:36], v0, s[4:5] offset:304
	global_load_dwordx2 v[33:34], v0, s[4:5] offset:688
	v_add_nc_u32_e32 v0, -8, v40
	v_add_nc_u32_e32 v39, v42, v45
	v_and_b32_e32 v38, 31, v42
	v_lshrrev_b32_e32 v40, 2, v42
	v_cndmask_b32_e64 v0, v0, v41, s0
	v_add_nc_u32_e32 v44, v39, v45
	v_lshrrev_b32_e32 v41, 7, v42
	v_lshl_add_u32 v43, v38, 3, 0
	v_and_b32_e32 v40, 0xf8, v40
	v_mul_lo_u32 v42, v0, v37
	v_and_b32_e32 v46, 31, v39
	v_lshrrev_b32_e32 v47, 2, v39
	v_lshrrev_b32_e32 v39, 7, v39
	v_add_nc_u32_e32 v38, v44, v45
	v_and_b32_e32 v50, 31, v44
	v_lshrrev_b32_e32 v51, 2, v44
	v_lshrrev_b32_e32 v44, 7, v44
	v_add_nc_u32_e32 v48, s8, v40
	v_and_b32_e32 v49, 0xf8, v39
	v_mad_u64_u32 v[39:40], null, 0xffffff98, v37, v[38:39]
	v_and_b32_e32 v52, 31, v42
	v_lshrrev_b32_e32 v53, 2, v42
	v_lshrrev_b32_e32 v54, 7, v42
	v_add_nc_u32_e32 v42, v42, v45
	v_and_b32_e32 v41, 0xf8, v41
	ds_read_b32 v116, v43 offset:15360
	v_and_b32_e32 v40, 0xf8, v44
	v_and_b32_e32 v43, 31, v38
	v_lshrrev_b32_e32 v44, 2, v38
	v_lshrrev_b32_e32 v38, 7, v38
	v_and_b32_e32 v37, 0xf8, v51
	v_lshl_add_u32 v51, v52, 3, 0
	v_and_b32_e32 v52, 0xf8, v53
	v_and_b32_e32 v53, 0xf8, v54
	;; [unrolled: 1-line block ×3, first 2 shown]
	v_lshrrev_b32_e32 v55, 2, v42
	v_lshrrev_b32_e32 v56, 7, v42
	v_add_nc_u32_e32 v42, v42, v45
	v_add_nc_u32_e32 v41, s8, v41
	v_and_b32_e32 v47, 0xf8, v47
	v_and_b32_e32 v38, 0xf8, v38
	v_lshl_add_u32 v46, v46, 3, 0
	v_lshrrev_b32_e32 v59, 2, v39
	v_and_b32_e32 v58, 31, v39
	v_add_nc_u32_e32 v60, v39, v45
	ds_read_b64 v[76:77], v48 offset:256
	ds_read_b64 v[78:79], v41 offset:512
	ds_read_b32 v117, v46 offset:15360
	v_add_nc_u32_e32 v46, s8, v37
	v_add_nc_u32_e32 v37, s8, v40
	v_lshl_add_u32 v40, v43, 3, 0
	v_and_b32_e32 v41, 0xf8, v44
	v_add_nc_u32_e32 v43, s8, v52
	v_add_nc_u32_e32 v44, s8, v53
	v_and_b32_e32 v52, 0xf8, v55
	v_and_b32_e32 v53, 0xf8, v56
	v_lshrrev_b32_e32 v55, 2, v42
	v_add_nc_u32_e32 v47, s8, v47
	v_lshrrev_b32_e32 v82, 7, v39
	v_add_nc_u32_e32 v83, s8, v38
	v_add_nc_u32_e32 v49, s8, v49
	v_and_b32_e32 v59, 0xf8, v59
	v_lshl_add_u32 v50, v50, 3, 0
	v_lshl_add_u32 v58, v58, 3, 0
	v_and_b32_e32 v93, 31, v60
	v_lshl_add_u32 v48, v54, 3, 0
	v_and_b32_e32 v54, 31, v42
	v_lshrrev_b32_e32 v56, 7, v42
	v_add_nc_u32_e32 v57, v42, v45
	v_add_nc_u32_e32 v96, s8, v41
	ds_read_b64 v[80:81], v37 offset:512
	ds_read_b32 v118, v40 offset:15360
	ds_read_b64 v[39:40], v51 offset:15360
	ds_read_b64 v[41:42], v43 offset:256
	;; [unrolled: 1-line block ×4, first 2 shown]
	v_add_nc_u32_e32 v51, s8, v53
	v_and_b32_e32 v53, 0xf8, v55
	v_and_b32_e32 v94, 0xf8, v82
	ds_read_b64 v[82:83], v83 offset:512
	ds_read_b64 v[84:85], v47 offset:256
	;; [unrolled: 1-line block ×3, first 2 shown]
	ds_read_b32 v119, v50 offset:15360
	ds_read_b64 v[88:89], v58 offset:15360
	v_add_nc_u32_e32 v48, s8, v52
	v_add_nc_u32_e32 v92, v60, v45
	v_lshrrev_b32_e32 v95, 2, v60
	v_lshrrev_b32_e32 v60, 7, v60
	v_add_nc_u32_e32 v59, s8, v59
	ds_read_b64 v[90:91], v46 offset:256
	ds_read_b32 v120, v58 offset:15364
	v_lshl_add_u32 v58, v93, 3, 0
	v_lshl_add_u32 v52, v54, 3, 0
	v_and_b32_e32 v54, 0xf8, v56
	v_lshrrev_b32_e32 v56, 2, v57
	v_and_b32_e32 v55, 31, v57
	v_lshrrev_b32_e32 v57, 7, v57
	v_add_nc_u32_e32 v53, s8, v53
	v_and_b32_e32 v97, 0xf8, v95
	v_add_nc_u32_e32 v104, s8, v94
	v_and_b32_e32 v60, 0xf8, v60
	v_and_b32_e32 v98, 31, v92
	v_add_nc_u32_e32 v99, v92, v45
	v_lshrrev_b32_e32 v100, 2, v92
	v_lshrrev_b32_e32 v101, 7, v92
	ds_read_b64 v[47:48], v48 offset:256
	ds_read_b64 v[45:46], v51 offset:512
	;; [unrolled: 1-line block ×6, first 2 shown]
	v_and_b32_e32 v56, 0xf8, v56
	v_and_b32_e32 v57, 0xf8, v57
	v_add_nc_u32_e32 v54, s8, v54
	v_add_nc_u32_e32 v103, s8, v97
	ds_read_b64 v[96:97], v96 offset:256
	ds_read_b32 v121, v58 offset:15364
	v_and_b32_e32 v106, 0xf8, v100
	v_and_b32_e32 v107, 31, v99
	v_add_nc_u32_e32 v100, s8, v60
	v_lshrrev_b32_e32 v108, 2, v99
	v_lshrrev_b32_e32 v110, 7, v99
	v_lshl_add_u32 v55, v55, 3, 0
	v_add_nc_u32_e32 v102, s8, v56
	v_add_nc_u32_e32 v57, s8, v57
	v_lshl_add_u32 v105, v98, 3, 0
	v_and_b32_e32 v109, 0xf8, v101
	ds_read_b64 v[53:54], v54 offset:512
	ds_read_b64 v[55:56], v55 offset:15360
	;; [unrolled: 1-line block ×5, first 2 shown]
	ds_read_b32 v122, v105 offset:15364
	ds_read_b64 v[100:101], v100 offset:512
	ds_read_b64 v[102:103], v103 offset:256
	;; [unrolled: 1-line block ×3, first 2 shown]
	v_add_nc_u32_e32 v106, s8, v106
	v_lshl_add_u32 v111, v107, 3, 0
	v_and_b32_e32 v108, 0xf8, v108
	v_and_b32_e32 v110, 0xf8, v110
	s_waitcnt lgkmcnt(18)
	v_mul_f32_e32 v124, v119, v91
	v_mul_f32_e32 v91, v89, v91
	v_add_nc_u32_e32 v114, s8, v109
	ds_read_b64 v[106:107], v106 offset:256
	v_add_nc_u32_e32 v112, s8, v108
	ds_read_b64 v[108:109], v111 offset:15360
	ds_read_b32 v125, v111 offset:15364
	v_add_nc_u32_e32 v110, s8, v110
	v_fmac_f32_e32 v124, v89, v90
	v_fma_f32 v89, v119, v90, -v91
	s_waitcnt lgkmcnt(15)
	v_mul_f32_e32 v90, v120, v93
	ds_read_b64 v[110:111], v110 offset:512
	ds_read_b64 v[112:113], v112 offset:256
	;; [unrolled: 1-line block ×3, first 2 shown]
	s_waitcnt lgkmcnt(16)
	v_mul_f32_e32 v127, v118, v97
	v_mul_f32_e32 v91, v88, v93
	;; [unrolled: 1-line block ×3, first 2 shown]
	v_fma_f32 v88, v88, v92, -v90
	v_mul_f32_e32 v90, v95, v97
	v_mul_f32_e32 v123, v116, v77
	v_fmac_f32_e32 v127, v95, v96
	v_fmac_f32_e32 v91, v120, v92
	v_mul_f32_e32 v81, v89, v81
	v_fma_f32 v89, v80, v89, -v93
	v_fma_f32 v90, v118, v96, -v90
	s_waitcnt lgkmcnt(7)
	v_mul_f32_e32 v92, v121, v103
	v_mul_f32_e32 v93, v94, v103
	;; [unrolled: 1-line block ×5, first 2 shown]
	v_fmac_f32_e32 v123, v99, v76
	v_fmac_f32_e32 v81, v80, v124
	v_fma_f32 v80, v94, v102, -v92
	v_fmac_f32_e32 v93, v121, v102
	v_mul_f32_e32 v83, v90, v83
	s_waitcnt lgkmcnt(6)
	v_mul_f32_e32 v92, v91, v105
	v_mul_f32_e32 v94, v88, v105
	v_fma_f32 v76, v116, v76, -v77
	s_waitcnt lgkmcnt(4)
	v_mul_f32_e32 v85, v109, v85
	v_fma_f32 v90, v82, v90, -v95
	v_mul_f32_e32 v77, v122, v107
	v_mul_f32_e32 v95, v98, v107
	;; [unrolled: 1-line block ×3, first 2 shown]
	v_fmac_f32_e32 v126, v109, v84
	v_fmac_f32_e32 v83, v82, v127
	v_fma_f32 v82, v104, v88, -v92
	v_fmac_f32_e32 v94, v104, v91
	v_mul_f32_e32 v79, v76, v79
	v_fma_f32 v84, v117, v84, -v85
	v_mul_f32_e32 v85, v93, v101
	s_waitcnt lgkmcnt(1)
	v_mul_f32_e32 v91, v125, v113
	v_mul_f32_e32 v92, v108, v113
	v_fma_f32 v77, v98, v106, -v77
	v_fmac_f32_e32 v95, v122, v106
	v_fma_f32 v76, v78, v76, -v96
	v_mul_f32_e32 v88, v80, v101
	v_mul_f32_e32 v96, v126, v87
	v_fmac_f32_e32 v79, v78, v123
	v_fma_f32 v78, v100, v80, -v85
	v_fma_f32 v80, v108, v112, -v91
	v_fmac_f32_e32 v92, v125, v112
	v_fmac_f32_e32 v88, v100, v93
	v_mul_f32_e32 v85, v84, v87
	s_waitcnt lgkmcnt(0)
	v_mul_f32_e32 v87, v95, v115
	v_fma_f32 v84, v86, v84, -v96
	v_mul_f32_e32 v91, v77, v115
	v_mul_f32_e32 v93, v92, v111
	;; [unrolled: 1-line block ×3, first 2 shown]
	v_fmac_f32_e32 v85, v86, v126
	v_fma_f32 v77, v114, v77, -v87
	v_fmac_f32_e32 v91, v114, v95
	v_fma_f32 v80, v110, v80, -v93
	v_fmac_f32_e32 v96, v110, v92
	s_waitcnt vmcnt(0)
	s_barrier
	buffer_gl0_inv
	v_mul_f32_e32 v86, v22, v12
	v_mul_f32_e32 v22, v22, v11
	;; [unrolled: 1-line block ×12, first 2 shown]
	v_fmac_f32_e32 v86, v21, v11
	v_fma_f32 v11, v21, v12, -v22
	v_fmac_f32_e32 v87, v23, v19
	v_fma_f32 v12, v23, v20, -v24
	;; [unrolled: 2-line block ×6, first 2 shown]
	v_sub_f32_e32 v16, v29, v87
	v_sub_f32_e32 v12, v30, v12
	;; [unrolled: 1-line block ×8, first 2 shown]
	v_fma_f32 v21, v29, 2.0, -v16
	v_fma_f32 v22, v30, 2.0, -v12
	;; [unrolled: 1-line block ×4, first 2 shown]
	v_add_f32_e32 v24, v16, v15
	v_sub_f32_e32 v18, v12, v18
	v_fma_f32 v15, v9, 2.0, -v19
	v_fma_f32 v10, v10, 2.0, -v13
	;; [unrolled: 1-line block ×4, first 2 shown]
	v_add_f32_e32 v14, v19, v14
	v_sub_f32_e32 v25, v13, v20
	v_sub_f32_e32 v20, v21, v23
	;; [unrolled: 1-line block ×3, first 2 shown]
	v_fma_f32 v16, v16, 2.0, -v24
	v_fma_f32 v12, v12, 2.0, -v18
	v_sub_f32_e32 v26, v15, v9
	v_sub_f32_e32 v27, v10, v17
	v_fma_f32 v28, v19, 2.0, -v14
	v_fma_f32 v29, v13, 2.0, -v25
	v_mul_f32_e32 v9, v18, v83
	v_mul_f32_e32 v17, v24, v83
	;; [unrolled: 1-line block ×3, first 2 shown]
	v_fma_f32 v31, v21, 2.0, -v20
	v_fma_f32 v22, v22, 2.0, -v23
	;; [unrolled: 1-line block ×4, first 2 shown]
	v_mul_f32_e32 v13, v12, v85
	v_mul_f32_e32 v34, v16, v85
	;; [unrolled: 1-line block ×4, first 2 shown]
	v_fmac_f32_e32 v9, v24, v90
	v_fma_f32 v10, v18, v90, -v17
	v_mul_f32_e32 v17, v29, v88
	v_mul_f32_e32 v18, v28, v88
	;; [unrolled: 1-line block ×5, first 2 shown]
	v_fmac_f32_e32 v11, v14, v80
	v_mul_f32_e32 v21, v22, v79
	v_mul_f32_e32 v36, v31, v79
	v_fmac_f32_e32 v13, v16, v84
	v_fma_f32 v14, v12, v84, -v34
	v_fma_f32 v16, v23, v89, -v35
	v_mul_f32_e32 v23, v33, v94
	v_mul_f32_e32 v12, v32, v94
	v_fmac_f32_e32 v15, v20, v89
	v_fmac_f32_e32 v17, v28, v78
	v_fma_f32 v18, v29, v78, -v18
	v_fmac_f32_e32 v19, v26, v77
	v_fma_f32 v20, v27, v77, -v24
	;; [unrolled: 2-line block ×4, first 2 shown]
	v_fma_f32 v12, v25, v80, -v30
	ds_write_b64 v74, v[9:10] offset:960
	ds_write2_b64 v74, v[13:14], v[15:16] offset0:40 offset1:80
	ds_write2_b64 v75, v[17:18], v[19:20] offset0:56 offset1:96
	ds_write2_b64 v74, v[21:22], v[23:24] offset1:16
	ds_write_b64 v75, v[11:12] offset:1088
	s_and_saveexec_b32 s0, vcc_lo
	s_cbranch_execz .LBB0_22
; %bb.21:
	v_mul_i32_i24_e32 v9, 3, v0
	v_mov_b32_e32 v10, 0
	v_mul_f32_e32 v0, v56, v60
	v_mul_f32_e32 v15, v55, v60
	;; [unrolled: 1-line block ×4, first 2 shown]
	v_lshlrev_b64 v[9:10], 3, v[9:10]
	v_fma_f32 v0, v55, v59, -v0
	v_fmac_f32_e32 v15, v56, v59
	v_fmac_f32_e32 v17, v50, v51
	v_fma_f32 v16, v49, v51, -v16
	v_mul_f32_e32 v18, v44, v48
	v_add_co_u32 v13, vcc_lo, s4, v9
	v_add_co_ci_u32_e32 v14, vcc_lo, s5, v10, vcc_lo
	v_mul_f32_e32 v22, v15, v58
	v_mul_f32_e32 v23, v0, v58
	s_clause 0x1
	global_load_dwordx4 v[9:12], v[13:14], off offset:288
	global_load_dwordx2 v[13:14], v[13:14], off offset:304
	v_mul_f32_e32 v24, v17, v54
	v_mul_f32_e32 v25, v16, v54
	v_fma_f32 v22, v57, v0, -v22
	v_fmac_f32_e32 v23, v57, v15
	v_mul_f32_e32 v20, v40, v42
	v_fma_f32 v15, v53, v16, -v24
	v_mul_f32_e32 v19, v43, v48
	v_mul_f32_e32 v21, v39, v42
	v_fma_f32 v18, v43, v47, -v18
	v_fma_f32 v20, v39, v41, -v20
	v_fmac_f32_e32 v25, v53, v17
	v_fmac_f32_e32 v19, v44, v47
	;; [unrolled: 1-line block ×3, first 2 shown]
	v_mul_f32_e32 v27, v18, v46
	v_mul_f32_e32 v29, v20, v38
	;; [unrolled: 1-line block ×4, first 2 shown]
	v_fmac_f32_e32 v27, v45, v19
	v_fmac_f32_e32 v29, v37, v21
	s_waitcnt vmcnt(1)
	v_mul_f32_e32 v0, v1, v12
	v_mul_f32_e32 v16, v8, v10
	s_waitcnt vmcnt(0)
	v_mul_f32_e32 v24, v4, v14
	v_mul_f32_e32 v10, v7, v10
	;; [unrolled: 1-line block ×4, first 2 shown]
	v_fma_f32 v0, v2, v11, -v0
	v_fmac_f32_e32 v16, v7, v9
	v_fmac_f32_e32 v24, v3, v13
	v_fma_f32 v2, v8, v9, -v10
	v_fma_f32 v3, v4, v13, -v14
	v_fmac_f32_e32 v12, v1, v11
	v_sub_f32_e32 v1, v6, v0
	v_sub_f32_e32 v0, v16, v24
	v_fma_f32 v7, v45, v18, -v26
	v_sub_f32_e32 v3, v2, v3
	v_sub_f32_e32 v4, v5, v12
	v_fma_f32 v6, v6, 2.0, -v1
	v_sub_f32_e32 v9, v1, v0
	v_fma_f32 v8, v37, v20, -v28
	v_fma_f32 v2, v2, 2.0, -v3
	v_add_f32_e32 v10, v4, v3
	v_fma_f32 v3, v5, 2.0, -v4
	v_fma_f32 v5, v16, 2.0, -v0
	v_mul_f32_e32 v0, v9, v23
	v_sub_f32_e32 v12, v6, v2
	v_mul_f32_e32 v11, v10, v23
	v_fma_f32 v14, v4, 2.0, -v10
	v_sub_f32_e32 v13, v3, v5
	v_fma_f32 v5, v1, 2.0, -v9
	v_fmac_f32_e32 v0, v10, v22
	v_fma_f32 v1, v9, v22, -v11
	v_fma_f32 v11, v6, 2.0, -v12
	v_fma_f32 v10, v3, 2.0, -v13
	v_mul_f32_e32 v16, v14, v27
	v_mul_f32_e32 v4, v5, v27
	;; [unrolled: 1-line block ×6, first 2 shown]
	v_fma_f32 v5, v5, v7, -v16
	v_fmac_f32_e32 v4, v14, v7
	v_fmac_f32_e32 v6, v10, v8
	v_fma_f32 v7, v11, v8, -v17
	v_fma_f32 v3, v12, v15, -v9
	v_fmac_f32_e32 v2, v13, v15
	ds_write2_b64 v74, v[6:7], v[4:5] offset0:32 offset1:72
	ds_write2_b64 v74, v[2:3], v[0:1] offset0:112 offset1:152
.LBB0_22:
	s_or_b32 exec_lo, exec_lo, s0
	s_waitcnt lgkmcnt(0)
	s_barrier
	buffer_gl0_inv
	s_and_saveexec_b32 s0, s1
	s_cbranch_execz .LBB0_24
; %bb.23:
	v_mad_u64_u32 v[4:5], null, s16, v68, 0
	v_mad_u64_u32 v[0:1], null, s18, v71, 0
	;; [unrolled: 1-line block ×3, first 2 shown]
	s_lshl_b64 s[0:1], s[6:7], 3
	v_add3_u32 v23, 0, v73, v72
	v_mov_b32_e32 v2, v5
	s_add_u32 s0, s2, s0
	s_addc_u32 s1, s3, s1
	v_mad_u64_u32 v[17:18], null, s16, v66, 0
	v_mad_u64_u32 v[8:9], null, s19, v71, v[1:2]
	;; [unrolled: 1-line block ×4, first 2 shown]
	v_mov_b32_e32 v3, v7
	v_mov_b32_e32 v1, v8
	v_mov_b32_e32 v7, v10
	v_mad_u64_u32 v[10:11], null, s17, v70, v[3:4]
	v_lshlrev_b64 v[11:12], 3, v[0:1]
	v_mov_b32_e32 v5, v2
	v_mad_u64_u32 v[13:14], null, s17, v69, v[7:8]
	ds_read2_b64 v[0:3], v23 offset1:16
	v_lshlrev_b64 v[4:5], 3, v[4:5]
	v_add_co_u32 v24, vcc_lo, s0, v11
	v_add_co_ci_u32_e32 v25, vcc_lo, s1, v12, vcc_lo
	v_mad_u64_u32 v[11:12], null, s16, v67, 0
	v_mov_b32_e32 v7, v10
	v_mov_b32_e32 v10, v13
	v_add_co_u32 v13, vcc_lo, v24, v4
	v_add_co_ci_u32_e32 v14, vcc_lo, v25, v5, vcc_lo
	v_lshlrev_b64 v[15:16], 3, v[6:7]
	ds_read2_b64 v[4:7], v23 offset0:32 offset1:48
	v_lshlrev_b64 v[8:9], 3, v[9:10]
	v_mov_b32_e32 v10, v12
	v_add_co_u32 v15, vcc_lo, v24, v15
	v_mad_u64_u32 v[19:20], null, s17, v67, v[10:11]
	v_add_co_ci_u32_e32 v16, vcc_lo, v25, v16, vcc_lo
	v_mov_b32_e32 v10, v18
	v_add_co_u32 v8, vcc_lo, v24, v8
	v_add_co_ci_u32_e32 v9, vcc_lo, v25, v9, vcc_lo
	v_mov_b32_e32 v12, v19
	v_mad_u64_u32 v[20:21], null, s17, v66, v[10:11]
	s_waitcnt lgkmcnt(1)
	global_store_dwordx2 v[13:14], v[0:1], off
	global_store_dwordx2 v[15:16], v[2:3], off
	s_waitcnt lgkmcnt(0)
	global_store_dwordx2 v[8:9], v[4:5], off
	v_mad_u64_u32 v[21:22], null, s16, v65, 0
	v_lshlrev_b64 v[0:1], 3, v[11:12]
	v_mad_u64_u32 v[8:9], null, s16, v64, 0
	v_mov_b32_e32 v18, v20
	v_mad_u64_u32 v[14:15], null, s16, v63, 0
	v_add_co_u32 v10, vcc_lo, v24, v0
	v_add_co_ci_u32_e32 v11, vcc_lo, v25, v1, vcc_lo
	ds_read2_b64 v[0:3], v23 offset0:64 offset1:80
	v_mov_b32_e32 v4, v22
	v_lshlrev_b64 v[12:13], 3, v[17:18]
	v_mad_u64_u32 v[4:5], null, s17, v65, v[4:5]
	v_mov_b32_e32 v5, v9
	v_add_co_u32 v12, vcc_lo, v24, v12
	v_add_co_ci_u32_e32 v13, vcc_lo, v25, v13, vcc_lo
	v_mad_u64_u32 v[16:17], null, s17, v64, v[5:6]
	v_mad_u64_u32 v[17:18], null, s16, v62, 0
	v_mov_b32_e32 v5, v15
	global_store_dwordx2 v[10:11], v[6:7], off
	s_waitcnt lgkmcnt(0)
	global_store_dwordx2 v[12:13], v[0:1], off
	v_mad_u64_u32 v[12:13], null, s16, v61, 0
	v_mov_b32_e32 v22, v4
	v_mad_u64_u32 v[4:5], null, s17, v63, v[5:6]
	v_mov_b32_e32 v5, v18
	v_mov_b32_e32 v9, v16
	v_lshlrev_b64 v[0:1], 3, v[21:22]
	v_mad_u64_u32 v[10:11], null, s17, v62, v[5:6]
	v_mov_b32_e32 v11, v13
	v_mov_b32_e32 v15, v4
	ds_read2_b64 v[4:7], v23 offset0:96 offset1:112
	v_lshlrev_b64 v[19:20], 3, v[8:9]
	v_add_co_u32 v0, vcc_lo, v24, v0
	v_mad_u64_u32 v[21:22], null, s17, v61, v[11:12]
	v_mov_b32_e32 v18, v10
	ds_read2_b64 v[8:11], v23 offset0:128 offset1:144
	v_lshlrev_b64 v[14:15], 3, v[14:15]
	v_add_co_ci_u32_e32 v1, vcc_lo, v25, v1, vcc_lo
	v_add_co_u32 v19, vcc_lo, v24, v19
	v_mov_b32_e32 v13, v21
	v_lshlrev_b64 v[16:17], 3, v[17:18]
	v_add_co_ci_u32_e32 v20, vcc_lo, v25, v20, vcc_lo
	v_add_co_u32 v14, vcc_lo, v24, v14
	v_lshlrev_b64 v[12:13], 3, v[12:13]
	v_add_co_ci_u32_e32 v15, vcc_lo, v25, v15, vcc_lo
	v_add_co_u32 v16, vcc_lo, v24, v16
	v_add_co_ci_u32_e32 v17, vcc_lo, v25, v17, vcc_lo
	v_add_co_u32 v12, vcc_lo, v24, v12
	v_add_co_ci_u32_e32 v13, vcc_lo, v25, v13, vcc_lo
	global_store_dwordx2 v[0:1], v[2:3], off
	s_waitcnt lgkmcnt(1)
	global_store_dwordx2 v[19:20], v[4:5], off
	global_store_dwordx2 v[14:15], v[6:7], off
	s_waitcnt lgkmcnt(0)
	global_store_dwordx2 v[16:17], v[8:9], off
	global_store_dwordx2 v[12:13], v[10:11], off
.LBB0_24:
	s_endpgm
	.section	.rodata,"a",@progbits
	.p2align	6, 0x0
	.amdhsa_kernel fft_rtc_back_len160_factors_4_10_4_wgs_192_tpt_16_sp_ip_CI_sbcc_twdbase5_3step
		.amdhsa_group_segment_fixed_size 0
		.amdhsa_private_segment_fixed_size 0
		.amdhsa_kernarg_size 96
		.amdhsa_user_sgpr_count 6
		.amdhsa_user_sgpr_private_segment_buffer 1
		.amdhsa_user_sgpr_dispatch_ptr 0
		.amdhsa_user_sgpr_queue_ptr 0
		.amdhsa_user_sgpr_kernarg_segment_ptr 1
		.amdhsa_user_sgpr_dispatch_id 0
		.amdhsa_user_sgpr_flat_scratch_init 0
		.amdhsa_user_sgpr_private_segment_size 0
		.amdhsa_wavefront_size32 1
		.amdhsa_uses_dynamic_stack 0
		.amdhsa_system_sgpr_private_segment_wavefront_offset 0
		.amdhsa_system_sgpr_workgroup_id_x 1
		.amdhsa_system_sgpr_workgroup_id_y 0
		.amdhsa_system_sgpr_workgroup_id_z 0
		.amdhsa_system_sgpr_workgroup_info 0
		.amdhsa_system_vgpr_workitem_id 0
		.amdhsa_next_free_vgpr 128
		.amdhsa_next_free_sgpr 44
		.amdhsa_reserve_vcc 1
		.amdhsa_reserve_flat_scratch 0
		.amdhsa_float_round_mode_32 0
		.amdhsa_float_round_mode_16_64 0
		.amdhsa_float_denorm_mode_32 3
		.amdhsa_float_denorm_mode_16_64 3
		.amdhsa_dx10_clamp 1
		.amdhsa_ieee_mode 1
		.amdhsa_fp16_overflow 0
		.amdhsa_workgroup_processor_mode 1
		.amdhsa_memory_ordered 1
		.amdhsa_forward_progress 0
		.amdhsa_shared_vgpr_count 0
		.amdhsa_exception_fp_ieee_invalid_op 0
		.amdhsa_exception_fp_denorm_src 0
		.amdhsa_exception_fp_ieee_div_zero 0
		.amdhsa_exception_fp_ieee_overflow 0
		.amdhsa_exception_fp_ieee_underflow 0
		.amdhsa_exception_fp_ieee_inexact 0
		.amdhsa_exception_int_div_zero 0
	.end_amdhsa_kernel
	.text
.Lfunc_end0:
	.size	fft_rtc_back_len160_factors_4_10_4_wgs_192_tpt_16_sp_ip_CI_sbcc_twdbase5_3step, .Lfunc_end0-fft_rtc_back_len160_factors_4_10_4_wgs_192_tpt_16_sp_ip_CI_sbcc_twdbase5_3step
                                        ; -- End function
	.section	.AMDGPU.csdata,"",@progbits
; Kernel info:
; codeLenInByte = 7520
; NumSgprs: 46
; NumVgprs: 128
; ScratchSize: 0
; MemoryBound: 0
; FloatMode: 240
; IeeeMode: 1
; LDSByteSize: 0 bytes/workgroup (compile time only)
; SGPRBlocks: 5
; VGPRBlocks: 15
; NumSGPRsForWavesPerEU: 46
; NumVGPRsForWavesPerEU: 128
; Occupancy: 8
; WaveLimiterHint : 1
; COMPUTE_PGM_RSRC2:SCRATCH_EN: 0
; COMPUTE_PGM_RSRC2:USER_SGPR: 6
; COMPUTE_PGM_RSRC2:TRAP_HANDLER: 0
; COMPUTE_PGM_RSRC2:TGID_X_EN: 1
; COMPUTE_PGM_RSRC2:TGID_Y_EN: 0
; COMPUTE_PGM_RSRC2:TGID_Z_EN: 0
; COMPUTE_PGM_RSRC2:TIDIG_COMP_CNT: 0
	.text
	.p2alignl 6, 3214868480
	.fill 48, 4, 3214868480
	.type	__hip_cuid_81a22268893ed1b3,@object ; @__hip_cuid_81a22268893ed1b3
	.section	.bss,"aw",@nobits
	.globl	__hip_cuid_81a22268893ed1b3
__hip_cuid_81a22268893ed1b3:
	.byte	0                               ; 0x0
	.size	__hip_cuid_81a22268893ed1b3, 1

	.ident	"AMD clang version 19.0.0git (https://github.com/RadeonOpenCompute/llvm-project roc-6.4.0 25133 c7fe45cf4b819c5991fe208aaa96edf142730f1d)"
	.section	".note.GNU-stack","",@progbits
	.addrsig
	.addrsig_sym __hip_cuid_81a22268893ed1b3
	.amdgpu_metadata
---
amdhsa.kernels:
  - .args:
      - .actual_access:  read_only
        .address_space:  global
        .offset:         0
        .size:           8
        .value_kind:     global_buffer
      - .address_space:  global
        .offset:         8
        .size:           8
        .value_kind:     global_buffer
      - .offset:         16
        .size:           8
        .value_kind:     by_value
      - .actual_access:  read_only
        .address_space:  global
        .offset:         24
        .size:           8
        .value_kind:     global_buffer
      - .actual_access:  read_only
        .address_space:  global
        .offset:         32
        .size:           8
        .value_kind:     global_buffer
      - .offset:         40
        .size:           8
        .value_kind:     by_value
      - .actual_access:  read_only
        .address_space:  global
        .offset:         48
        .size:           8
        .value_kind:     global_buffer
      - .actual_access:  read_only
        .address_space:  global
        .offset:         56
        .size:           8
        .value_kind:     global_buffer
      - .offset:         64
        .size:           4
        .value_kind:     by_value
      - .actual_access:  read_only
        .address_space:  global
        .offset:         72
        .size:           8
        .value_kind:     global_buffer
      - .actual_access:  read_only
        .address_space:  global
        .offset:         80
        .size:           8
        .value_kind:     global_buffer
      - .address_space:  global
        .offset:         88
        .size:           8
        .value_kind:     global_buffer
    .group_segment_fixed_size: 0
    .kernarg_segment_align: 8
    .kernarg_segment_size: 96
    .language:       OpenCL C
    .language_version:
      - 2
      - 0
    .max_flat_workgroup_size: 192
    .name:           fft_rtc_back_len160_factors_4_10_4_wgs_192_tpt_16_sp_ip_CI_sbcc_twdbase5_3step
    .private_segment_fixed_size: 0
    .sgpr_count:     46
    .sgpr_spill_count: 0
    .symbol:         fft_rtc_back_len160_factors_4_10_4_wgs_192_tpt_16_sp_ip_CI_sbcc_twdbase5_3step.kd
    .uniform_work_group_size: 1
    .uses_dynamic_stack: false
    .vgpr_count:     128
    .vgpr_spill_count: 0
    .wavefront_size: 32
    .workgroup_processor_mode: 1
amdhsa.target:   amdgcn-amd-amdhsa--gfx1030
amdhsa.version:
  - 1
  - 2
...

	.end_amdgpu_metadata
